;; amdgpu-corpus repo=ROCm/rocFFT kind=compiled arch=gfx1100 opt=O3
	.text
	.amdgcn_target "amdgcn-amd-amdhsa--gfx1100"
	.amdhsa_code_object_version 6
	.protected	fft_rtc_back_len50_factors_10_5_wgs_125_tpt_5_halfLds_dim1_dp_op_CI_CI_unitstride_sbrr_R2C_dirReg ; -- Begin function fft_rtc_back_len50_factors_10_5_wgs_125_tpt_5_halfLds_dim1_dp_op_CI_CI_unitstride_sbrr_R2C_dirReg
	.globl	fft_rtc_back_len50_factors_10_5_wgs_125_tpt_5_halfLds_dim1_dp_op_CI_CI_unitstride_sbrr_R2C_dirReg
	.p2align	8
	.type	fft_rtc_back_len50_factors_10_5_wgs_125_tpt_5_halfLds_dim1_dp_op_CI_CI_unitstride_sbrr_R2C_dirReg,@function
fft_rtc_back_len50_factors_10_5_wgs_125_tpt_5_halfLds_dim1_dp_op_CI_CI_unitstride_sbrr_R2C_dirReg: ; @fft_rtc_back_len50_factors_10_5_wgs_125_tpt_5_halfLds_dim1_dp_op_CI_CI_unitstride_sbrr_R2C_dirReg
; %bb.0:
	v_mul_u32_u24_e32 v1, 0x3334, v0
	s_clause 0x1
	s_load_b64 s[2:3], s[0:1], 0x20
	s_load_b64 s[6:7], s[0:1], 0x0
                                        ; implicit-def: $vgpr8
                                        ; implicit-def: $vgpr10
	s_delay_alu instid0(VALU_DEP_1) | instskip(NEXT) | instid1(VALU_DEP_1)
	v_lshrrev_b32_e32 v1, 16, v1
	v_mad_u64_u32 v[12:13], null, s15, 25, v[1:2]
	v_mov_b32_e32 v13, 0
	s_delay_alu instid0(VALU_DEP_2) | instskip(SKIP_1) | instid1(VALU_DEP_2)
	v_mul_hi_u32 v2, 0x51eb851f, v12
	s_waitcnt lgkmcnt(0)
	v_cmp_gt_u64_e32 vcc_lo, s[2:3], v[12:13]
	v_cmp_le_u64_e64 s2, s[2:3], v[12:13]
	s_delay_alu instid0(VALU_DEP_3) | instskip(NEXT) | instid1(VALU_DEP_1)
	v_lshrrev_b32_e32 v2, 3, v2
	v_mul_lo_u32 v2, v2, 25
	s_delay_alu instid0(VALU_DEP_1) | instskip(NEXT) | instid1(VALU_DEP_4)
	v_sub_nc_u32_e32 v3, v12, v2
                                        ; implicit-def: $vgpr2
	s_and_saveexec_b32 s3, s2
	s_delay_alu instid0(SALU_CYCLE_1)
	s_xor_b32 s2, exec_lo, s3
; %bb.1:
	v_and_b32_e32 v1, 0xffff, v0
	s_delay_alu instid0(VALU_DEP_1) | instskip(NEXT) | instid1(VALU_DEP_1)
	v_mul_u32_u24_e32 v1, 0x3334, v1
	v_lshrrev_b32_e32 v1, 16, v1
	s_delay_alu instid0(VALU_DEP_1) | instskip(NEXT) | instid1(VALU_DEP_1)
	v_mul_lo_u16 v1, v1, 5
	v_sub_nc_u16 v2, v0, v1
                                        ; implicit-def: $vgpr1
                                        ; implicit-def: $vgpr0
	s_delay_alu instid0(VALU_DEP_1) | instskip(NEXT) | instid1(VALU_DEP_1)
	v_and_b32_e32 v8, 0xffff, v2
	v_add_nc_u32_e32 v10, 5, v8
; %bb.2:
	s_or_saveexec_b32 s3, s2
	s_load_b64 s[4:5], s[0:1], 0x18
	v_mul_u32_u24_e32 v3, 51, v3
	s_delay_alu instid0(VALU_DEP_1)
	v_lshlrev_b32_e32 v3, 4, v3
	s_xor_b32 exec_lo, exec_lo, s3
	s_cbranch_execz .LBB0_4
; %bb.3:
	s_clause 0x1
	s_load_b64 s[8:9], s[0:1], 0x10
	s_load_b64 s[10:11], s[0:1], 0x50
	v_mul_lo_u16 v1, v1, 5
	s_waitcnt lgkmcnt(0)
	s_load_b64 s[8:9], s[8:9], 0x8
	s_waitcnt lgkmcnt(0)
	v_mad_u64_u32 v[4:5], null, s8, v12, 0
	s_delay_alu instid0(VALU_DEP_1) | instskip(NEXT) | instid1(VALU_DEP_1)
	v_mov_b32_e32 v2, v5
	v_mad_u64_u32 v[5:6], null, s9, v12, v[2:3]
	v_sub_nc_u16 v2, v0, v1
	s_delay_alu instid0(VALU_DEP_1) | instskip(NEXT) | instid1(VALU_DEP_3)
	v_and_b32_e32 v8, 0xffff, v2
	v_lshlrev_b64 v[0:1], 4, v[4:5]
	s_delay_alu instid0(VALU_DEP_2) | instskip(SKIP_1) | instid1(VALU_DEP_3)
	v_lshlrev_b32_e32 v9, 4, v8
	v_add_nc_u32_e32 v10, 5, v8
	v_add_co_u32 v0, s2, s10, v0
	s_delay_alu instid0(VALU_DEP_1) | instskip(NEXT) | instid1(VALU_DEP_2)
	v_add_co_ci_u32_e64 v1, s2, s11, v1, s2
	v_add_co_u32 v0, s2, v0, v9
	s_delay_alu instid0(VALU_DEP_1)
	v_add_co_ci_u32_e64 v1, s2, 0, v1, s2
	s_clause 0x9
	global_load_b128 v[4:7], v[0:1], off
	global_load_b128 v[13:16], v[0:1], off offset:80
	global_load_b128 v[17:20], v[0:1], off offset:160
	;; [unrolled: 1-line block ×9, first 2 shown]
	v_add3_u32 v0, 0, v3, v9
	s_waitcnt vmcnt(9)
	ds_store_b128 v0, v[4:7]
	s_waitcnt vmcnt(8)
	ds_store_b128 v0, v[13:16] offset:80
	s_waitcnt vmcnt(7)
	ds_store_b128 v0, v[17:20] offset:160
	;; [unrolled: 2-line block ×9, first 2 shown]
.LBB0_4:
	s_or_b32 exec_lo, exec_lo, s3
	v_lshlrev_b32_e32 v0, 4, v8
	s_waitcnt lgkmcnt(0)
	s_load_b64 s[4:5], s[4:5], 0x8
	s_waitcnt lgkmcnt(0)
	s_barrier
	buffer_gl0_inv
	v_add3_u32 v1, 0, v0, v3
	v_add_nc_u32_e32 v17, 0, v3
	s_mov_b32 s8, 0x134454ff
	s_mov_b32 s9, 0xbfee6f0e
	;; [unrolled: 1-line block ×3, first 2 shown]
	ds_load_b128 v[4:7], v1 offset:400
	ds_load_b128 v[13:16], v1 offset:560
	ds_load_b128 v[19:22], v1 offset:240
	ds_load_b128 v[23:26], v1 offset:720
	ds_load_b128 v[27:30], v1 offset:80
	ds_load_b128 v[31:34], v1 offset:160
	ds_load_b128 v[35:38], v1 offset:320
	ds_load_b128 v[39:42], v1 offset:480
	ds_load_b128 v[43:46], v1 offset:640
	v_add_nc_u32_e32 v18, v17, v0
	s_mov_b32 s10, s8
	s_mov_b32 s14, 0x4755a5e
	;; [unrolled: 1-line block ×13, first 2 shown]
	s_waitcnt lgkmcnt(7)
	v_add_f64 v[47:48], v[6:7], v[15:16]
	v_add_f64 v[53:54], v[4:5], v[13:14]
	s_waitcnt lgkmcnt(5)
	v_add_f64 v[51:52], v[21:22], v[25:26]
	v_add_f64 v[55:56], v[19:20], -v[23:24]
	v_add_f64 v[59:60], v[19:20], v[23:24]
	v_add_f64 v[61:62], v[4:5], -v[13:14]
	s_waitcnt lgkmcnt(1)
	v_add_f64 v[63:64], v[35:36], v[39:40]
	s_waitcnt lgkmcnt(0)
	v_add_f64 v[65:66], v[31:32], v[43:44]
	v_add_f64 v[67:68], v[37:38], v[41:42]
	;; [unrolled: 1-line block ×4, first 2 shown]
	v_add_f64 v[77:78], v[21:22], -v[25:26]
	v_add_f64 v[79:80], v[21:22], -v[6:7]
	;; [unrolled: 1-line block ×6, first 2 shown]
	v_fma_f64 v[57:58], v[47:48], -0.5, v[29:30]
	ds_load_b128 v[47:50], v18
	v_fma_f64 v[51:52], v[51:52], -0.5, v[29:30]
	v_add_f64 v[29:30], v[29:30], v[21:22]
	v_fma_f64 v[53:54], v[53:54], -0.5, v[27:28]
	v_add_f64 v[21:22], v[6:7], -v[21:22]
	v_fma_f64 v[27:28], v[59:60], -0.5, v[27:28]
	v_add_f64 v[59:60], v[6:7], -v[15:16]
	s_waitcnt lgkmcnt(0)
	s_barrier
	buffer_gl0_inv
	v_add_f64 v[79:80], v[79:80], v[81:82]
	v_add_f64 v[75:76], v[49:50], v[33:34]
	;; [unrolled: 1-line block ×3, first 2 shown]
	v_fma_f64 v[63:64], v[63:64], -0.5, v[47:48]
	v_fma_f64 v[47:48], v[65:66], -0.5, v[47:48]
	;; [unrolled: 1-line block ×4, first 2 shown]
	v_add_f64 v[67:68], v[31:32], -v[35:36]
	v_add_f64 v[69:70], v[19:20], -v[4:5]
	;; [unrolled: 1-line block ×3, first 2 shown]
	v_add_f64 v[3:4], v[71:72], v[4:5]
	v_add_f64 v[71:72], v[37:38], -v[41:42]
	v_fma_f64 v[85:86], v[55:56], s[10:11], v[57:58]
	v_fma_f64 v[57:58], v[55:56], s[8:9], v[57:58]
	;; [unrolled: 1-line block ×4, first 2 shown]
	v_add_f64 v[5:6], v[29:30], v[6:7]
	v_add_f64 v[29:30], v[31:32], -v[43:44]
	v_add_f64 v[31:32], v[33:34], -v[37:38]
	;; [unrolled: 1-line block ×3, first 2 shown]
	v_fma_f64 v[81:82], v[77:78], s[8:9], v[53:54]
	v_add_f64 v[21:22], v[21:22], v[83:84]
	v_add_f64 v[83:84], v[43:44], -v[39:40]
	v_fma_f64 v[53:54], v[77:78], s[10:11], v[53:54]
	v_mad_u32_u24 v7, 0x90, v8, v1
	v_add_f64 v[37:38], v[75:76], v[37:38]
	v_add_f64 v[75:76], v[23:24], -v[13:14]
	v_add_f64 v[73:74], v[73:74], v[35:36]
	v_add_f64 v[35:36], v[35:36], -v[39:40]
	v_add_f64 v[3:4], v[3:4], v[13:14]
	v_fma_f64 v[85:86], v[61:62], s[16:17], v[85:86]
	v_fma_f64 v[57:58], v[61:62], s[14:15], v[57:58]
	v_add_f64 v[61:62], v[13:14], -v[23:24]
	v_fma_f64 v[89:90], v[55:56], s[16:17], v[89:90]
	v_fma_f64 v[51:52], v[55:56], s[14:15], v[51:52]
	v_fma_f64 v[55:56], v[59:60], s[10:11], v[27:28]
	v_fma_f64 v[27:28], v[59:60], s[8:9], v[27:28]
	v_add_f64 v[5:6], v[5:6], v[15:16]
	v_add_f64 v[67:68], v[67:68], v[83:84]
	v_add_f64 v[83:84], v[45:46], -v[41:42]
	v_fma_f64 v[53:54], v[59:60], s[16:17], v[53:54]
	v_add_f64 v[37:38], v[37:38], v[41:42]
	v_add_f64 v[69:70], v[69:70], v[75:76]
	v_fma_f64 v[75:76], v[59:60], s[14:15], v[81:82]
	v_fma_f64 v[59:60], v[87:88], s[8:9], v[63:64]
	v_fma_f64 v[63:64], v[87:88], s[10:11], v[63:64]
	v_add_f64 v[81:82], v[39:40], -v[43:44]
	v_add_f64 v[39:40], v[73:74], v[39:40]
	v_add_f64 v[23:24], v[3:4], v[23:24]
	v_fma_f64 v[85:86], v[79:80], s[12:13], v[85:86]
	v_fma_f64 v[57:58], v[79:80], s[12:13], v[57:58]
	v_add_f64 v[19:20], v[19:20], v[61:62]
	v_fma_f64 v[79:80], v[29:30], s[10:11], v[65:66]
	v_fma_f64 v[65:66], v[29:30], s[8:9], v[65:66]
	;; [unrolled: 1-line block ×8, first 2 shown]
	v_add_f64 v[61:62], v[41:42], -v[45:46]
	v_fma_f64 v[77:78], v[71:72], s[10:11], v[47:48]
	v_fma_f64 v[47:48], v[71:72], s[8:9], v[47:48]
	v_add_f64 v[31:32], v[31:32], v[83:84]
	v_add_f64 v[25:26], v[5:6], v[25:26]
	;; [unrolled: 1-line block ×3, first 2 shown]
	v_fma_f64 v[75:76], v[69:70], s[12:13], v[75:76]
	v_fma_f64 v[13:14], v[71:72], s[14:15], v[59:60]
	;; [unrolled: 1-line block ×3, first 2 shown]
	v_add_f64 v[81:82], v[91:92], v[81:82]
	v_add_f64 v[39:40], v[39:40], v[43:44]
	v_mul_f64 v[63:64], v[57:58], s[14:15]
	v_mul_f64 v[57:58], v[57:58], s[20:21]
	v_fma_f64 v[59:60], v[35:36], s[16:17], v[79:80]
	v_fma_f64 v[35:36], v[35:36], s[14:15], v[65:66]
	;; [unrolled: 1-line block ×7, first 2 shown]
	v_mul_f64 v[27:28], v[85:86], s[14:15]
	v_add_f64 v[33:34], v[33:34], v[61:62]
	v_fma_f64 v[41:42], v[87:88], s[14:15], v[77:78]
	v_mul_f64 v[55:56], v[89:90], s[8:9]
	v_mul_f64 v[69:70], v[89:90], s[12:13]
	v_fma_f64 v[47:48], v[87:88], s[16:17], v[47:48]
	v_mul_f64 v[61:62], v[21:22], s[8:9]
	v_mul_f64 v[21:22], v[21:22], s[18:19]
	v_add_f64 v[5:6], v[37:38], v[25:26]
	v_mul_f64 v[65:66], v[75:76], s[16:17]
	v_fma_f64 v[43:44], v[67:68], s[12:13], v[13:14]
	v_fma_f64 v[45:46], v[67:68], s[12:13], v[15:16]
	v_add_f64 v[15:16], v[37:38], -v[25:26]
	v_add_f64 v[3:4], v[39:40], v[23:24]
	v_add_f64 v[13:14], v[39:40], -v[23:24]
	v_fma_f64 v[59:60], v[31:32], s[12:13], v[59:60]
	v_fma_f64 v[67:68], v[31:32], s[12:13], v[35:36]
	;; [unrolled: 1-line block ×14, first 2 shown]
	v_add_f64 v[31:32], v[45:46], v[63:64]
	v_add_f64 v[33:34], v[67:68], v[49:50]
	v_add_f64 v[49:50], v[67:68], -v[49:50]
	v_add_f64 v[19:20], v[43:44], v[35:36]
	v_add_f64 v[35:36], v[43:44], -v[35:36]
	v_add_f64 v[23:24], v[41:42], v[55:56]
	v_add_f64 v[25:26], v[51:52], v[53:54]
	v_add_f64 v[39:40], v[41:42], -v[55:56]
	v_add_f64 v[41:42], v[51:52], -v[53:54]
	v_mov_b32_e32 v52, 0
	v_add_f64 v[27:28], v[47:48], v[61:62]
	v_add_f64 v[21:22], v[59:60], v[65:66]
	;; [unrolled: 1-line block ×3, first 2 shown]
	v_add_f64 v[37:38], v[59:60], -v[65:66]
	v_add_f64 v[43:44], v[47:48], -v[61:62]
	;; [unrolled: 1-line block ×4, first 2 shown]
	v_lshlrev_b32_e32 v51, 2, v8
	ds_store_b128 v7, v[3:6]
	ds_store_b128 v7, v[19:22] offset:16
	ds_store_b128 v7, v[23:26] offset:32
	;; [unrolled: 1-line block ×9, first 2 shown]
	v_lshlrev_b64 v[53:54], 4, v[51:52]
	s_waitcnt lgkmcnt(0)
	s_barrier
	buffer_gl0_inv
	v_lshlrev_b32_e32 v51, 2, v10
	v_add_co_u32 v53, s2, s6, v53
	s_delay_alu instid0(VALU_DEP_1) | instskip(SKIP_4) | instid1(VALU_DEP_1)
	v_add_co_ci_u32_e64 v54, s2, s7, v54, s2
	s_clause 0x1
	global_load_b128 v[3:6], v[53:54], off
	global_load_b128 v[13:16], v[53:54], off offset:16
	v_lshlrev_b64 v[19:20], 4, v[51:52]
	v_add_co_u32 v39, s2, s6, v19
	s_delay_alu instid0(VALU_DEP_1)
	v_add_co_ci_u32_e64 v40, s2, s7, v20, s2
	s_clause 0x5
	global_load_b128 v[19:22], v[53:54], off offset:32
	global_load_b128 v[23:26], v[53:54], off offset:48
	global_load_b128 v[27:30], v[39:40], off
	global_load_b128 v[31:34], v[39:40], off offset:16
	global_load_b128 v[35:38], v[39:40], off offset:32
	;; [unrolled: 1-line block ×3, first 2 shown]
	ds_load_b128 v[43:46], v1 offset:160
	ds_load_b128 v[47:50], v1 offset:320
	;; [unrolled: 1-line block ×8, first 2 shown]
	v_cmp_ne_u16_e64 s2, 0, v2
	s_waitcnt vmcnt(7) lgkmcnt(7)
	v_mul_f64 v[75:76], v[45:46], v[5:6]
	v_mul_f64 v[5:6], v[43:44], v[5:6]
	s_waitcnt vmcnt(6) lgkmcnt(6)
	v_mul_f64 v[77:78], v[49:50], v[15:16]
	v_mul_f64 v[15:16], v[47:48], v[15:16]
	;; [unrolled: 3-line block ×4, first 2 shown]
	s_waitcnt vmcnt(3)
	v_mul_f64 v[83:84], v[53:54], v[29:30]
	v_fma_f64 v[43:44], v[43:44], v[3:4], v[75:76]
	v_fma_f64 v[45:46], v[45:46], v[3:4], -v[5:6]
	v_mul_f64 v[3:4], v[51:52], v[29:30]
	s_waitcnt vmcnt(2) lgkmcnt(2)
	v_mul_f64 v[5:6], v[65:66], v[33:34]
	v_mul_f64 v[29:30], v[63:64], v[33:34]
	s_waitcnt vmcnt(1) lgkmcnt(1)
	v_mul_f64 v[33:34], v[69:70], v[37:38]
	v_fma_f64 v[47:48], v[47:48], v[13:14], v[77:78]
	v_fma_f64 v[49:50], v[49:50], v[13:14], -v[15:16]
	s_waitcnt vmcnt(0) lgkmcnt(0)
	v_mul_f64 v[13:14], v[73:74], v[41:42]
	v_mul_f64 v[15:16], v[67:68], v[37:38]
	;; [unrolled: 1-line block ×3, first 2 shown]
	v_fma_f64 v[41:42], v[55:56], v[19:20], v[79:80]
	v_fma_f64 v[20:21], v[57:58], v[19:20], -v[21:22]
	v_fma_f64 v[55:56], v[59:60], v[23:24], v[81:82]
	v_fma_f64 v[22:23], v[61:62], v[23:24], -v[25:26]
	v_fma_f64 v[24:25], v[51:52], v[27:28], v[83:84]
	v_lshl_add_u32 v19, v10, 4, v17
	v_fma_f64 v[26:27], v[53:54], v[27:28], -v[3:4]
	v_fma_f64 v[51:52], v[63:64], v[31:32], v[5:6]
	v_fma_f64 v[28:29], v[65:66], v[31:32], -v[29:30]
	v_fma_f64 v[30:31], v[67:68], v[35:36], v[33:34]
	ds_load_b128 v[3:6], v18
	v_add_f64 v[77:78], v[45:46], -v[49:50]
	v_fma_f64 v[32:33], v[71:72], v[39:40], v[13:14]
	v_fma_f64 v[34:35], v[69:70], v[35:36], -v[15:16]
	ds_load_b128 v[13:16], v19
	v_fma_f64 v[36:37], v[73:74], v[39:40], -v[37:38]
	v_add_f64 v[38:39], v[47:48], v[41:42]
	v_add_f64 v[53:54], v[43:44], v[55:56]
	;; [unrolled: 1-line block ×4, first 2 shown]
	v_add_f64 v[69:70], v[43:44], -v[47:48]
	v_add_f64 v[71:72], v[55:56], -v[41:42]
	v_add_f64 v[73:74], v[47:48], -v[43:44]
	v_add_f64 v[75:76], v[41:42], -v[55:56]
	v_add_f64 v[79:80], v[22:23], -v[20:21]
	v_add_f64 v[87:88], v[49:50], -v[45:46]
	v_add_f64 v[89:90], v[20:21], -v[22:23]
	s_waitcnt lgkmcnt(0)
	s_barrier
	buffer_gl0_inv
	v_add_f64 v[81:82], v[3:4], v[43:44]
	v_add_f64 v[83:84], v[5:6], v[45:46]
	v_add_f64 v[45:46], v[45:46], -v[22:23]
	v_add_f64 v[43:44], v[43:44], -v[55:56]
	v_add_f64 v[85:86], v[13:14], v[24:25]
	v_add_f64 v[91:92], v[24:25], -v[51:52]
	v_add_f64 v[61:62], v[51:52], v[30:31]
	v_add_f64 v[63:64], v[24:25], v[32:33]
	;; [unrolled: 1-line block ×3, first 2 shown]
	v_add_f64 v[93:94], v[32:33], -v[30:31]
	v_add_f64 v[67:68], v[26:27], v[36:37]
	v_fma_f64 v[38:39], v[38:39], -0.5, v[3:4]
	v_fma_f64 v[3:4], v[53:54], -0.5, v[3:4]
	;; [unrolled: 1-line block ×4, first 2 shown]
	v_add_f64 v[57:58], v[51:52], -v[24:25]
	v_add_f64 v[59:60], v[30:31], -v[32:33]
	v_add_f64 v[69:70], v[69:70], v[71:72]
	v_add_f64 v[71:72], v[36:37], -v[34:35]
	v_add_f64 v[73:74], v[73:74], v[75:76]
	;; [unrolled: 2-line block ×3, first 2 shown]
	v_add_f64 v[79:80], v[34:35], -v[36:37]
	v_add_f64 v[24:25], v[24:25], -v[32:33]
	v_add_f64 v[87:88], v[87:88], v[89:90]
	v_add_f64 v[81:82], v[81:82], v[47:48]
	;; [unrolled: 1-line block ×3, first 2 shown]
	v_add_f64 v[49:50], v[49:50], -v[20:21]
	v_add_f64 v[47:48], v[47:48], -v[41:42]
	v_add_f64 v[85:86], v[85:86], v[51:52]
	v_add_f64 v[89:90], v[28:29], -v[34:35]
	v_add_f64 v[51:52], v[51:52], -v[30:31]
	v_fma_f64 v[61:62], v[61:62], -0.5, v[13:14]
	v_fma_f64 v[13:14], v[63:64], -0.5, v[13:14]
	;; [unrolled: 1-line block ×3, first 2 shown]
	v_add_f64 v[91:92], v[91:92], v[93:94]
	v_fma_f64 v[65:66], v[67:68], -0.5, v[15:16]
	v_add_f64 v[15:16], v[15:16], v[26:27]
	v_add_f64 v[67:68], v[26:27], -v[28:29]
	v_add_f64 v[26:27], v[26:27], -v[36:37]
	v_add_f64 v[57:58], v[57:58], v[59:60]
	v_add_f64 v[20:21], v[83:84], v[20:21]
	;; [unrolled: 1-line block ×3, first 2 shown]
	v_fma_f64 v[83:84], v[89:90], s[10:11], v[13:14]
	v_fma_f64 v[85:86], v[24:25], s[10:11], v[63:64]
	;; [unrolled: 1-line block ×4, first 2 shown]
	v_add_f64 v[15:16], v[15:16], v[28:29]
	v_add_f64 v[59:60], v[67:68], v[71:72]
	;; [unrolled: 1-line block ×4, first 2 shown]
	v_fma_f64 v[40:41], v[45:46], s[8:9], v[38:39]
	v_fma_f64 v[38:39], v[45:46], s[10:11], v[38:39]
	;; [unrolled: 1-line block ×12, first 2 shown]
	v_add_f64 v[15:16], v[15:16], v[34:35]
	v_fma_f64 v[34:35], v[49:50], s[14:15], v[40:41]
	v_fma_f64 v[38:39], v[49:50], s[16:17], v[38:39]
	;; [unrolled: 1-line block ×16, first 2 shown]
	v_add_f64 v[3:4], v[28:29], v[55:56]
	v_add_f64 v[5:6], v[20:21], v[22:23]
	;; [unrolled: 1-line block ×4, first 2 shown]
	v_fma_f64 v[20:21], v[69:70], s[12:13], v[34:35]
	v_fma_f64 v[24:25], v[69:70], s[12:13], v[38:39]
	;; [unrolled: 1-line block ×16, first 2 shown]
	ds_store_b128 v1, v[3:6]
	ds_store_b128 v1, v[20:23] offset:160
	ds_store_b128 v1, v[28:31] offset:320
	;; [unrolled: 1-line block ×4, first 2 shown]
	ds_store_b128 v19, v[13:16]
	ds_store_b128 v19, v[36:39] offset:160
	ds_store_b128 v19, v[44:47] offset:320
	;; [unrolled: 1-line block ×4, first 2 shown]
	s_waitcnt lgkmcnt(0)
	s_barrier
	buffer_gl0_inv
	ds_load_b128 v[4:7], v18
	v_sub_nc_u32_e32 v20, v17, v0
                                        ; implicit-def: $vgpr0_vgpr1
                                        ; implicit-def: $vgpr13_vgpr14
                                        ; implicit-def: $vgpr15_vgpr16
	s_and_saveexec_b32 s3, s2
	s_delay_alu instid0(SALU_CYCLE_1)
	s_xor_b32 s2, exec_lo, s3
	s_cbranch_execz .LBB0_6
; %bb.5:
	v_and_b32_e32 v0, 0xffff, v2
	s_delay_alu instid0(VALU_DEP_1)
	v_lshlrev_b32_e32 v0, 4, v0
	global_load_b128 v[21:24], v0, s[6:7] offset:640
	ds_load_b128 v[0:3], v20 offset:800
	s_waitcnt lgkmcnt(0)
	v_add_f64 v[13:14], v[4:5], -v[0:1]
	v_add_f64 v[15:16], v[6:7], v[2:3]
	v_add_f64 v[2:3], v[6:7], -v[2:3]
	v_add_f64 v[0:1], v[4:5], v[0:1]
	s_delay_alu instid0(VALU_DEP_4) | instskip(NEXT) | instid1(VALU_DEP_4)
	v_mul_f64 v[6:7], v[13:14], 0.5
	v_mul_f64 v[4:5], v[15:16], 0.5
	s_delay_alu instid0(VALU_DEP_4) | instskip(SKIP_1) | instid1(VALU_DEP_3)
	v_mul_f64 v[2:3], v[2:3], 0.5
	s_waitcnt vmcnt(0)
	v_mul_f64 v[13:14], v[6:7], v[23:24]
	s_delay_alu instid0(VALU_DEP_2) | instskip(SKIP_1) | instid1(VALU_DEP_3)
	v_fma_f64 v[15:16], v[4:5], v[23:24], v[2:3]
	v_fma_f64 v[2:3], v[4:5], v[23:24], -v[2:3]
	v_fma_f64 v[25:26], v[0:1], 0.5, v[13:14]
	v_fma_f64 v[0:1], v[0:1], 0.5, -v[13:14]
	s_delay_alu instid0(VALU_DEP_4) | instskip(NEXT) | instid1(VALU_DEP_4)
	v_fma_f64 v[15:16], -v[21:22], v[6:7], v[15:16]
	v_fma_f64 v[2:3], -v[21:22], v[6:7], v[2:3]
	s_delay_alu instid0(VALU_DEP_4) | instskip(NEXT) | instid1(VALU_DEP_4)
	v_fma_f64 v[13:14], v[4:5], v[21:22], v[25:26]
	v_fma_f64 v[0:1], -v[4:5], v[21:22], v[0:1]
                                        ; implicit-def: $vgpr4_vgpr5
.LBB0_6:
	s_and_not1_saveexec_b32 s2, s2
	s_cbranch_execz .LBB0_8
; %bb.7:
	s_waitcnt lgkmcnt(0)
	v_add_f64 v[13:14], v[4:5], v[6:7]
	v_add_f64 v[0:1], v[4:5], -v[6:7]
	ds_load_b64 v[4:5], v17 offset:408
	v_mov_b32_e32 v15, 0
	v_mov_b32_e32 v16, 0
	s_delay_alu instid0(VALU_DEP_1)
	v_dual_mov_b32 v2, v15 :: v_dual_mov_b32 v3, v16
	s_waitcnt lgkmcnt(0)
	v_xor_b32_e32 v5, 0x80000000, v5
	ds_store_b64 v17, v[4:5] offset:408
.LBB0_8:
	s_or_b32 exec_lo, exec_lo, s2
	v_mov_b32_e32 v11, 0
	s_waitcnt lgkmcnt(0)
	s_delay_alu instid0(VALU_DEP_1) | instskip(SKIP_1) | instid1(VALU_DEP_1)
	v_lshlrev_b64 v[4:5], 4, v[10:11]
	v_mov_b32_e32 v9, v11
	v_lshlrev_b64 v[9:10], 4, v[8:9]
	s_delay_alu instid0(VALU_DEP_3) | instskip(NEXT) | instid1(VALU_DEP_1)
	v_add_co_u32 v4, s2, s6, v4
	v_add_co_ci_u32_e64 v5, s2, s7, v5, s2
	s_add_u32 s2, s6, 0x280
	s_addc_u32 s3, s7, 0
	s_delay_alu instid0(VALU_DEP_3)
	v_add_co_u32 v9, s2, s2, v9
	global_load_b128 v[4:7], v[4:5], off offset:640
	v_add_co_ci_u32_e64 v10, s2, s3, v10, s2
	global_load_b128 v[21:24], v[9:10], off offset:160
	ds_store_2addr_b64 v18, v[13:14], v[15:16] offset1:1
	ds_store_b128 v20, v[0:3] offset:800
	ds_load_b128 v[0:3], v19
	ds_load_b128 v[13:16], v20 offset:720
	s_waitcnt lgkmcnt(0)
	v_add_f64 v[25:26], v[0:1], -v[13:14]
	v_add_f64 v[27:28], v[2:3], v[15:16]
	v_add_f64 v[2:3], v[2:3], -v[15:16]
	v_add_f64 v[0:1], v[0:1], v[13:14]
	s_delay_alu instid0(VALU_DEP_4) | instskip(NEXT) | instid1(VALU_DEP_4)
	v_mul_f64 v[15:16], v[25:26], 0.5
	v_mul_f64 v[25:26], v[27:28], 0.5
	s_delay_alu instid0(VALU_DEP_4) | instskip(SKIP_1) | instid1(VALU_DEP_3)
	v_mul_f64 v[2:3], v[2:3], 0.5
	s_waitcnt vmcnt(1)
	v_mul_f64 v[13:14], v[15:16], v[6:7]
	s_delay_alu instid0(VALU_DEP_2) | instskip(SKIP_1) | instid1(VALU_DEP_3)
	v_fma_f64 v[27:28], v[25:26], v[6:7], v[2:3]
	v_fma_f64 v[2:3], v[25:26], v[6:7], -v[2:3]
	v_fma_f64 v[6:7], v[0:1], 0.5, v[13:14]
	v_fma_f64 v[0:1], v[0:1], 0.5, -v[13:14]
	s_delay_alu instid0(VALU_DEP_4) | instskip(NEXT) | instid1(VALU_DEP_4)
	v_fma_f64 v[13:14], -v[4:5], v[15:16], v[27:28]
	v_fma_f64 v[2:3], -v[4:5], v[15:16], v[2:3]
	s_delay_alu instid0(VALU_DEP_4) | instskip(NEXT) | instid1(VALU_DEP_4)
	v_fma_f64 v[15:16], v[25:26], v[4:5], v[6:7]
	v_fma_f64 v[0:1], -v[25:26], v[4:5], v[0:1]
	global_load_b128 v[4:7], v[9:10], off offset:240
	ds_store_2addr_b64 v19, v[15:16], v[13:14] offset1:1
	ds_store_b128 v20, v[0:3] offset:720
	ds_load_b128 v[0:3], v18 offset:160
	ds_load_b128 v[13:16], v20 offset:640
	s_waitcnt lgkmcnt(0)
	v_add_f64 v[25:26], v[0:1], -v[13:14]
	v_add_f64 v[27:28], v[2:3], v[15:16]
	v_add_f64 v[2:3], v[2:3], -v[15:16]
	v_add_f64 v[0:1], v[0:1], v[13:14]
	s_delay_alu instid0(VALU_DEP_4) | instskip(NEXT) | instid1(VALU_DEP_4)
	v_mul_f64 v[15:16], v[25:26], 0.5
	v_mul_f64 v[25:26], v[27:28], 0.5
	s_delay_alu instid0(VALU_DEP_4) | instskip(SKIP_1) | instid1(VALU_DEP_3)
	v_mul_f64 v[2:3], v[2:3], 0.5
	s_waitcnt vmcnt(1)
	v_mul_f64 v[13:14], v[15:16], v[23:24]
	s_delay_alu instid0(VALU_DEP_2) | instskip(SKIP_1) | instid1(VALU_DEP_3)
	v_fma_f64 v[27:28], v[25:26], v[23:24], v[2:3]
	v_fma_f64 v[2:3], v[25:26], v[23:24], -v[2:3]
	v_fma_f64 v[23:24], v[0:1], 0.5, v[13:14]
	v_fma_f64 v[0:1], v[0:1], 0.5, -v[13:14]
	s_delay_alu instid0(VALU_DEP_4) | instskip(NEXT) | instid1(VALU_DEP_4)
	v_fma_f64 v[27:28], -v[21:22], v[15:16], v[27:28]
	v_fma_f64 v[2:3], -v[21:22], v[15:16], v[2:3]
	global_load_b128 v[13:16], v[9:10], off offset:320
	v_fma_f64 v[23:24], v[25:26], v[21:22], v[23:24]
	v_fma_f64 v[0:1], -v[25:26], v[21:22], v[0:1]
	ds_store_2addr_b64 v18, v[23:24], v[27:28] offset0:20 offset1:21
	ds_store_b128 v20, v[0:3] offset:640
	ds_load_b128 v[0:3], v18 offset:240
	ds_load_b128 v[21:24], v20 offset:560
	s_waitcnt lgkmcnt(0)
	v_add_f64 v[9:10], v[0:1], -v[21:22]
	v_add_f64 v[25:26], v[2:3], v[23:24]
	v_add_f64 v[2:3], v[2:3], -v[23:24]
	v_add_f64 v[0:1], v[0:1], v[21:22]
	s_delay_alu instid0(VALU_DEP_4) | instskip(NEXT) | instid1(VALU_DEP_4)
	v_mul_f64 v[9:10], v[9:10], 0.5
	v_mul_f64 v[23:24], v[25:26], 0.5
	s_delay_alu instid0(VALU_DEP_4) | instskip(SKIP_1) | instid1(VALU_DEP_3)
	v_mul_f64 v[2:3], v[2:3], 0.5
	s_waitcnt vmcnt(1)
	v_mul_f64 v[21:22], v[9:10], v[6:7]
	s_delay_alu instid0(VALU_DEP_2) | instskip(SKIP_1) | instid1(VALU_DEP_3)
	v_fma_f64 v[25:26], v[23:24], v[6:7], v[2:3]
	v_fma_f64 v[2:3], v[23:24], v[6:7], -v[2:3]
	v_fma_f64 v[6:7], v[0:1], 0.5, v[21:22]
	v_fma_f64 v[0:1], v[0:1], 0.5, -v[21:22]
	s_delay_alu instid0(VALU_DEP_4) | instskip(NEXT) | instid1(VALU_DEP_4)
	v_fma_f64 v[21:22], -v[4:5], v[9:10], v[25:26]
	v_fma_f64 v[2:3], -v[4:5], v[9:10], v[2:3]
	s_delay_alu instid0(VALU_DEP_4) | instskip(NEXT) | instid1(VALU_DEP_4)
	v_fma_f64 v[6:7], v[23:24], v[4:5], v[6:7]
	v_fma_f64 v[0:1], -v[23:24], v[4:5], v[0:1]
	ds_store_2addr_b64 v18, v[6:7], v[21:22] offset0:30 offset1:31
	ds_store_b128 v20, v[0:3] offset:560
	ds_load_b128 v[0:3], v18 offset:320
	ds_load_b128 v[4:7], v20 offset:480
	s_waitcnt lgkmcnt(0)
	v_add_f64 v[9:10], v[0:1], -v[4:5]
	v_add_f64 v[21:22], v[2:3], v[6:7]
	v_add_f64 v[2:3], v[2:3], -v[6:7]
	v_add_f64 v[0:1], v[0:1], v[4:5]
	s_delay_alu instid0(VALU_DEP_4) | instskip(NEXT) | instid1(VALU_DEP_4)
	v_mul_f64 v[6:7], v[9:10], 0.5
	v_mul_f64 v[9:10], v[21:22], 0.5
	s_delay_alu instid0(VALU_DEP_4) | instskip(SKIP_1) | instid1(VALU_DEP_3)
	v_mul_f64 v[2:3], v[2:3], 0.5
	s_waitcnt vmcnt(0)
	v_mul_f64 v[4:5], v[6:7], v[15:16]
	s_delay_alu instid0(VALU_DEP_2) | instskip(SKIP_1) | instid1(VALU_DEP_3)
	v_fma_f64 v[21:22], v[9:10], v[15:16], v[2:3]
	v_fma_f64 v[2:3], v[9:10], v[15:16], -v[2:3]
	v_fma_f64 v[15:16], v[0:1], 0.5, v[4:5]
	v_fma_f64 v[0:1], v[0:1], 0.5, -v[4:5]
	s_delay_alu instid0(VALU_DEP_4) | instskip(NEXT) | instid1(VALU_DEP_4)
	v_fma_f64 v[4:5], -v[13:14], v[6:7], v[21:22]
	v_fma_f64 v[2:3], -v[13:14], v[6:7], v[2:3]
	s_delay_alu instid0(VALU_DEP_4) | instskip(NEXT) | instid1(VALU_DEP_4)
	v_fma_f64 v[6:7], v[9:10], v[13:14], v[15:16]
	v_fma_f64 v[0:1], -v[9:10], v[13:14], v[0:1]
	ds_store_2addr_b64 v18, v[6:7], v[4:5] offset0:40 offset1:41
	ds_store_b128 v20, v[0:3] offset:480
	s_waitcnt lgkmcnt(0)
	s_barrier
	buffer_gl0_inv
	s_and_saveexec_b32 s2, vcc_lo
	s_cbranch_execz .LBB0_11
; %bb.9:
	v_mad_u64_u32 v[0:1], null, s4, v12, 0
	s_load_b64 s[0:1], s[0:1], 0x58
	v_dual_mov_b32 v9, v11 :: v_dual_add_nc_u32 v10, 5, v8
	s_delay_alu instid0(VALU_DEP_1) | instskip(NEXT) | instid1(VALU_DEP_3)
	v_lshlrev_b64 v[34:35], 4, v[8:9]
	v_mad_u64_u32 v[18:19], null, s5, v12, v[1:2]
	v_lshl_add_u32 v2, v8, 4, v17
	s_delay_alu instid0(VALU_DEP_4)
	v_lshlrev_b64 v[32:33], 4, v[10:11]
	v_add_nc_u32_e32 v10, 10, v8
	ds_load_b128 v[3:6], v2
	ds_load_b128 v[12:15], v2 offset:80
	v_mov_b32_e32 v1, v18
	v_lshlrev_b64 v[36:37], 4, v[10:11]
	v_add_nc_u32_e32 v10, 15, v8
	ds_load_b128 v[16:19], v2 offset:160
	ds_load_b128 v[20:23], v2 offset:240
	;; [unrolled: 1-line block ×4, first 2 shown]
	v_lshlrev_b64 v[0:1], 4, v[0:1]
	v_lshlrev_b64 v[38:39], 4, v[10:11]
	v_add_nc_u32_e32 v10, 20, v8
	s_waitcnt lgkmcnt(0)
	s_delay_alu instid0(VALU_DEP_3) | instskip(NEXT) | instid1(VALU_DEP_4)
	v_add_co_u32 v0, vcc_lo, s0, v0
	v_add_co_ci_u32_e32 v1, vcc_lo, s1, v1, vcc_lo
	s_delay_alu instid0(VALU_DEP_3) | instskip(NEXT) | instid1(VALU_DEP_3)
	v_lshlrev_b64 v[40:41], 4, v[10:11]
	v_add_co_u32 v9, vcc_lo, v0, v34
	s_delay_alu instid0(VALU_DEP_3)
	v_add_co_ci_u32_e32 v10, vcc_lo, v1, v35, vcc_lo
	v_add_co_u32 v32, vcc_lo, v0, v32
	v_add_co_ci_u32_e32 v33, vcc_lo, v1, v33, vcc_lo
	s_clause 0x1
	global_store_b128 v[9:10], v[3:6], off
	global_store_b128 v[32:33], v[12:15], off
	v_add_nc_u32_e32 v10, 25, v8
	v_add_co_u32 v34, vcc_lo, v0, v36
	v_add_co_ci_u32_e32 v35, vcc_lo, v1, v37, vcc_lo
	v_add_co_u32 v3, vcc_lo, v0, v38
	s_delay_alu instid0(VALU_DEP_4) | instskip(SKIP_4) | instid1(VALU_DEP_4)
	v_lshlrev_b64 v[5:6], 4, v[10:11]
	v_add_nc_u32_e32 v10, 30, v8
	v_add_co_ci_u32_e32 v4, vcc_lo, v1, v39, vcc_lo
	v_add_co_u32 v12, vcc_lo, v0, v40
	v_add_co_ci_u32_e32 v13, vcc_lo, v1, v41, vcc_lo
	v_lshlrev_b64 v[14:15], 4, v[10:11]
	v_add_nc_u32_e32 v10, 35, v8
	v_add_co_u32 v5, vcc_lo, v0, v5
	v_add_co_ci_u32_e32 v6, vcc_lo, v1, v6, vcc_lo
	s_clause 0x3
	global_store_b128 v[34:35], v[16:19], off
	global_store_b128 v[3:4], v[20:23], off
	;; [unrolled: 1-line block ×4, first 2 shown]
	v_lshlrev_b64 v[26:27], 4, v[10:11]
	v_add_nc_u32_e32 v10, 40, v8
	v_add_co_u32 v24, vcc_lo, v0, v14
	v_add_co_ci_u32_e32 v25, vcc_lo, v1, v15, vcc_lo
	ds_load_b128 v[3:6], v2 offset:480
	ds_load_b128 v[12:15], v2 offset:560
	;; [unrolled: 1-line block ×4, first 2 shown]
	v_lshlrev_b64 v[28:29], 4, v[10:11]
	v_add_nc_u32_e32 v10, 45, v8
	v_add_co_u32 v26, vcc_lo, v0, v26
	v_add_co_ci_u32_e32 v27, vcc_lo, v1, v27, vcc_lo
	s_delay_alu instid0(VALU_DEP_3) | instskip(SKIP_2) | instid1(VALU_DEP_3)
	v_lshlrev_b64 v[9:10], 4, v[10:11]
	v_add_co_u32 v28, vcc_lo, v0, v28
	v_add_co_ci_u32_e32 v29, vcc_lo, v1, v29, vcc_lo
	v_add_co_u32 v9, vcc_lo, v0, v9
	s_delay_alu instid0(VALU_DEP_4)
	v_add_co_ci_u32_e32 v10, vcc_lo, v1, v10, vcc_lo
	v_cmp_eq_u32_e32 vcc_lo, 4, v8
	s_waitcnt lgkmcnt(3)
	global_store_b128 v[24:25], v[3:6], off
	s_waitcnt lgkmcnt(2)
	global_store_b128 v[26:27], v[12:15], off
	;; [unrolled: 2-line block ×4, first 2 shown]
	s_and_b32 exec_lo, exec_lo, vcc_lo
	s_cbranch_execz .LBB0_11
; %bb.10:
	ds_load_b128 v[2:5], v2 offset:736
	s_waitcnt lgkmcnt(0)
	global_store_b128 v[0:1], v[2:5], off offset:800
.LBB0_11:
	s_nop 0
	s_sendmsg sendmsg(MSG_DEALLOC_VGPRS)
	s_endpgm
	.section	.rodata,"a",@progbits
	.p2align	6, 0x0
	.amdhsa_kernel fft_rtc_back_len50_factors_10_5_wgs_125_tpt_5_halfLds_dim1_dp_op_CI_CI_unitstride_sbrr_R2C_dirReg
		.amdhsa_group_segment_fixed_size 0
		.amdhsa_private_segment_fixed_size 0
		.amdhsa_kernarg_size 96
		.amdhsa_user_sgpr_count 15
		.amdhsa_user_sgpr_dispatch_ptr 0
		.amdhsa_user_sgpr_queue_ptr 0
		.amdhsa_user_sgpr_kernarg_segment_ptr 1
		.amdhsa_user_sgpr_dispatch_id 0
		.amdhsa_user_sgpr_private_segment_size 0
		.amdhsa_wavefront_size32 1
		.amdhsa_uses_dynamic_stack 0
		.amdhsa_enable_private_segment 0
		.amdhsa_system_sgpr_workgroup_id_x 1
		.amdhsa_system_sgpr_workgroup_id_y 0
		.amdhsa_system_sgpr_workgroup_id_z 0
		.amdhsa_system_sgpr_workgroup_info 0
		.amdhsa_system_vgpr_workitem_id 0
		.amdhsa_next_free_vgpr 95
		.amdhsa_next_free_sgpr 22
		.amdhsa_reserve_vcc 1
		.amdhsa_float_round_mode_32 0
		.amdhsa_float_round_mode_16_64 0
		.amdhsa_float_denorm_mode_32 3
		.amdhsa_float_denorm_mode_16_64 3
		.amdhsa_dx10_clamp 1
		.amdhsa_ieee_mode 1
		.amdhsa_fp16_overflow 0
		.amdhsa_workgroup_processor_mode 1
		.amdhsa_memory_ordered 1
		.amdhsa_forward_progress 0
		.amdhsa_shared_vgpr_count 0
		.amdhsa_exception_fp_ieee_invalid_op 0
		.amdhsa_exception_fp_denorm_src 0
		.amdhsa_exception_fp_ieee_div_zero 0
		.amdhsa_exception_fp_ieee_overflow 0
		.amdhsa_exception_fp_ieee_underflow 0
		.amdhsa_exception_fp_ieee_inexact 0
		.amdhsa_exception_int_div_zero 0
	.end_amdhsa_kernel
	.text
.Lfunc_end0:
	.size	fft_rtc_back_len50_factors_10_5_wgs_125_tpt_5_halfLds_dim1_dp_op_CI_CI_unitstride_sbrr_R2C_dirReg, .Lfunc_end0-fft_rtc_back_len50_factors_10_5_wgs_125_tpt_5_halfLds_dim1_dp_op_CI_CI_unitstride_sbrr_R2C_dirReg
                                        ; -- End function
	.section	.AMDGPU.csdata,"",@progbits
; Kernel info:
; codeLenInByte = 5428
; NumSgprs: 24
; NumVgprs: 95
; ScratchSize: 0
; MemoryBound: 0
; FloatMode: 240
; IeeeMode: 1
; LDSByteSize: 0 bytes/workgroup (compile time only)
; SGPRBlocks: 2
; VGPRBlocks: 11
; NumSGPRsForWavesPerEU: 24
; NumVGPRsForWavesPerEU: 95
; Occupancy: 16
; WaveLimiterHint : 1
; COMPUTE_PGM_RSRC2:SCRATCH_EN: 0
; COMPUTE_PGM_RSRC2:USER_SGPR: 15
; COMPUTE_PGM_RSRC2:TRAP_HANDLER: 0
; COMPUTE_PGM_RSRC2:TGID_X_EN: 1
; COMPUTE_PGM_RSRC2:TGID_Y_EN: 0
; COMPUTE_PGM_RSRC2:TGID_Z_EN: 0
; COMPUTE_PGM_RSRC2:TIDIG_COMP_CNT: 0
	.text
	.p2alignl 7, 3214868480
	.fill 96, 4, 3214868480
	.type	__hip_cuid_1292d5dc257da27f,@object ; @__hip_cuid_1292d5dc257da27f
	.section	.bss,"aw",@nobits
	.globl	__hip_cuid_1292d5dc257da27f
__hip_cuid_1292d5dc257da27f:
	.byte	0                               ; 0x0
	.size	__hip_cuid_1292d5dc257da27f, 1

	.ident	"AMD clang version 19.0.0git (https://github.com/RadeonOpenCompute/llvm-project roc-6.4.0 25133 c7fe45cf4b819c5991fe208aaa96edf142730f1d)"
	.section	".note.GNU-stack","",@progbits
	.addrsig
	.addrsig_sym __hip_cuid_1292d5dc257da27f
	.amdgpu_metadata
---
amdhsa.kernels:
  - .args:
      - .actual_access:  read_only
        .address_space:  global
        .offset:         0
        .size:           8
        .value_kind:     global_buffer
      - .actual_access:  read_only
        .address_space:  global
        .offset:         8
        .size:           8
        .value_kind:     global_buffer
      - .actual_access:  read_only
        .address_space:  global
        .offset:         16
        .size:           8
        .value_kind:     global_buffer
      - .actual_access:  read_only
        .address_space:  global
        .offset:         24
        .size:           8
        .value_kind:     global_buffer
      - .offset:         32
        .size:           8
        .value_kind:     by_value
      - .actual_access:  read_only
        .address_space:  global
        .offset:         40
        .size:           8
        .value_kind:     global_buffer
      - .actual_access:  read_only
        .address_space:  global
        .offset:         48
        .size:           8
        .value_kind:     global_buffer
      - .offset:         56
        .size:           4
        .value_kind:     by_value
      - .actual_access:  read_only
        .address_space:  global
        .offset:         64
        .size:           8
        .value_kind:     global_buffer
      - .actual_access:  read_only
        .address_space:  global
        .offset:         72
        .size:           8
        .value_kind:     global_buffer
      - .actual_access:  read_only
        .address_space:  global
        .offset:         80
        .size:           8
        .value_kind:     global_buffer
      - .actual_access:  write_only
        .address_space:  global
        .offset:         88
        .size:           8
        .value_kind:     global_buffer
    .group_segment_fixed_size: 0
    .kernarg_segment_align: 8
    .kernarg_segment_size: 96
    .language:       OpenCL C
    .language_version:
      - 2
      - 0
    .max_flat_workgroup_size: 125
    .name:           fft_rtc_back_len50_factors_10_5_wgs_125_tpt_5_halfLds_dim1_dp_op_CI_CI_unitstride_sbrr_R2C_dirReg
    .private_segment_fixed_size: 0
    .sgpr_count:     24
    .sgpr_spill_count: 0
    .symbol:         fft_rtc_back_len50_factors_10_5_wgs_125_tpt_5_halfLds_dim1_dp_op_CI_CI_unitstride_sbrr_R2C_dirReg.kd
    .uniform_work_group_size: 1
    .uses_dynamic_stack: false
    .vgpr_count:     95
    .vgpr_spill_count: 0
    .wavefront_size: 32
    .workgroup_processor_mode: 1
amdhsa.target:   amdgcn-amd-amdhsa--gfx1100
amdhsa.version:
  - 1
  - 2
...

	.end_amdgpu_metadata
